;; amdgpu-corpus repo=ROCm/aiter kind=harvested arch=n/a opt=n/a

/root/src/amdgpu-assembly/repos/ROCm__aiter/hsa/gfx942/fmha_v3_bwd/bwd_hd128_dq_convert_bf16_rtz_group.co:	file format elf64-amdgpu

Disassembly of section .text:

0000000000002100 <_ZN5aiter40fmha_bwd_hd128_dq_convert_bf16_rtz_groupE>:
	s_and_b32 s1, s1, 0xffff                                   // 000000002100: 8601FF01 0000FFFF
	s_load_dwordx2 s[12:13], s[0:1], 0x0                       // 000000002108: C0060300 00000000
	s_load_dwordx2 s[16:17], s[0:1], 0x10                      // 000000002110: C0060400 00000010
	s_load_dword s6, s[0:1], 0x20                              // 000000002118: C0020180 00000020
	s_load_dword s8, s[0:1], 0x40                              // 000000002120: C0020200 00000040
	s_load_dword s9, s[0:1], 0x50                              // 000000002128: C0020240 00000050
	s_load_dword s11, s[0:1], 0x70                             // 000000002130: C00202C0 00000070
	s_load_dword s34, s[0:1], 0x90                             // 000000002138: C0020880 00000090
	s_load_dwordx2 s[40:41], s[0:1], 0xa0                      // 000000002140: C0060A00 000000A0
	s_load_dwordx2 s[44:45], s[0:1], 0xb0                      // 000000002148: C0060B00 000000B0
	v_lshrrev_b32_e32 v1, 10, v0                               // 000000002150: 2002008A
	v_lshrrev_b32_e32 v2, 10, v1                               // 000000002154: 2004028A
	v_and_b32_e32 v2, 0x3ff, v2                                // 000000002158: 260404FF 000003FF
	v_and_b32_e32 v1, 0x3ff, v1                                // 000000002160: 260202FF 000003FF
	v_and_b32_e32 v0, 0x3ff, v0                                // 000000002168: 260000FF 000003FF
	v_lshrrev_b32_e32 v3, 6, v0                                // 000000002170: 20060086
	v_and_b32_e32 v0, 63, v0                                   // 000000002174: 260000BF
	s_mov_b32 s2, s2                                           // 000000002178: BE820002
	s_mov_b32 s3, s3                                           // 00000000217C: BE830003
	s_mov_b32 s4, s4                                           // 000000002180: BE840004
	v_readfirstlane_b32 s24, v3                                // 000000002184: 7E300503
	s_waitcnt lgkmcnt(0)                                       // 000000002188: BF8CC07F
	s_mul_i32 s25, s4, 4                                       // 00000000218C: 92198404
	s_add_u32 s40, s25, s40                                    // 000000002190: 80282819
	s_addc_u32 s41, 0, s41                                     // 000000002194: 82292980
	s_load_dwordx2 s[42:43], s[40:41], 0x0                     // 000000002198: C0060A94 00000000
	s_add_u32 s44, s25, s44                                    // 0000000021A0: 802C2C19
	s_addc_u32 s45, 0, s45                                     // 0000000021A4: 822D2D80
	s_load_dword s46, s[44:45], 0x0                            // 0000000021A8: C0020B96 00000000
	s_mov_b32 s15, 0x20000                                     // 0000000021B0: BE8F00FF 00020000
	s_mov_b32 s19, 0x20000                                     // 0000000021B8: BE9300FF 00020000
	s_and_b32 s13, s13, 0xffff                                 // 0000000021C0: 860DFF0D 0000FFFF
	s_and_b32 s17, s17, 0xffff                                 // 0000000021C8: 8611FF11 0000FFFF
	s_or_b32 s13, s13, 0x40000                                 // 0000000021D0: 870DFF0D 00040000
	s_or_b32 s17, s17, 0x40000                                 // 0000000021D8: 8711FF11 00040000
	v_mov_b32_e32 v27, 0                                       // 0000000021E0: 7E360280
	s_mov_b32 s20, s12                                         // 0000000021E4: BE94000C
	s_mov_b32 s21, s13                                         // 0000000021E8: BE95000D
	s_mov_b32 s22, s16                                         // 0000000021EC: BE960010
	s_mov_b32 s23, s17                                         // 0000000021F0: BE970011
	s_waitcnt lgkmcnt(0)                                       // 0000000021F4: BF8CC07F
	s_mul_i32 s25, s2, 64                                      // 0000000021F8: 9219C002
	s_sub_i32 s35, s43, s42                                    // 0000000021FC: 81A32A2B
	s_mov_b32 s42, s46                                         // 000000002200: BEAA002E
	s_cmp_ge_i32 s25, s35                                      // 000000002204: BF032319
	s_cbranch_scc1 label_0279                                  // 000000002208: BF850236
	s_mov_b32 s38, 0x7060302                                   // 00000000220C: BEA600FF 07060302
	s_mul_i32 s25, s8, 64                                      // 000000002214: 9219C008
	s_mul_i32 s25, s2, s25                                     // 000000002218: 92191902
	s_mul_i32 s26, s35, s8                                     // 00000000221C: 921A0823
	s_sub_i32 s26, s26, s25                                    // 000000002220: 819A191A
	s_mov_b32 s14, s26                                         // 000000002224: BE8E001A
	s_add_u32 s12, s25, s20                                    // 000000002228: 800C1419
	s_addc_u32 s13, 0, s21                                     // 00000000222C: 820D1580
	s_mul_i32 s25, s3, s6                                      // 000000002230: 92190603
	s_mul_hi_u32 s26, s3, s6                                   // 000000002234: 961A0603
	s_and_b32 s26, s26, 0xffff                                 // 000000002238: 861AFF1A 0000FFFF
	s_add_u32 s12, s12, s25                                    // 000000002240: 800C190C
	s_addc_u32 s13, s13, s26                                   // 000000002244: 820D1A0D
	s_mul_i32 s25, s42, s8                                     // 000000002248: 9219082A
	s_mul_hi_u32 s26, s42, s8                                  // 00000000224C: 961A082A
	s_and_b32 s26, s26, 0xffff                                 // 000000002250: 861AFF1A 0000FFFF
	s_add_u32 s12, s12, s25                                    // 000000002258: 800C190C
	s_addc_u32 s13, s13, s26                                   // 00000000225C: 820D1A0D
	s_mul_i32 s25, s11, 64                                     // 000000002260: 9219C00B
	s_mul_i32 s25, s2, s25                                     // 000000002264: 92191902
	s_mul_i32 s26, s35, s11                                    // 000000002268: 921A0B23
	s_sub_i32 s26, s26, s25                                    // 00000000226C: 819A191A
	s_mov_b32 s18, s26                                         // 000000002270: BE92001A
	s_add_u32 s16, s25, s22                                    // 000000002274: 80101619
	s_addc_u32 s17, 0, s23                                     // 000000002278: 82111780
	s_mul_i32 s25, s3, s9                                      // 00000000227C: 92190903
	s_mul_hi_u32 s26, s3, s9                                   // 000000002280: 961A0903
	s_and_b32 s26, s26, 0xffff                                 // 000000002284: 861AFF1A 0000FFFF
	s_add_u32 s16, s16, s25                                    // 00000000228C: 80101910
	s_addc_u32 s17, s17, s26                                   // 000000002290: 82111A11
	s_mul_i32 s25, s42, s11                                    // 000000002294: 92190B2A
	s_mul_hi_u32 s26, s42, s11                                 // 000000002298: 961A0B2A
	s_and_b32 s26, s26, 0xffff                                 // 00000000229C: 861AFF1A 0000FFFF
	s_add_u32 s16, s16, s25                                    // 0000000022A4: 80101910
	s_addc_u32 s17, s17, s26                                   // 0000000022A8: 82111A11
	v_readfirstlane_b32 s24, v3                                // 0000000022AC: 7E300503
	v_lshrrev_b32_e32 v20, 4, v0                               // 0000000022B0: 20280084
	v_mul_i32_i24_e32 v20, s8, v20                             // 0000000022B4: 0C282808
	v_and_b32_e32 v21, 15, v0                                  // 0000000022B8: 262A008F
	v_mul_i32_i24_e32 v21, 16, v21                             // 0000000022BC: 0C2A2A90
	v_add_u32_e32 v21, v20, v21                                // 0000000022C0: 682A2B14
	v_mov_b32_e32 v4, v21                                      // 0000000022C4: 7E080315
	s_mul_i32 s25, 16, s8                                      // 0000000022C8: 92190890
	s_mul_i32 s25, s24, s25                                    // 0000000022CC: 92191918
	v_add_u32_e32 v4, s25, v4                                  // 0000000022D0: 68080819
	v_mov_b32_e32 v6, 0                                        // 0000000022D4: 7E0C0280
	v_lshrrev_b32_e32 v20, 5, v0                               // 0000000022D8: 20280085
	v_lshlrev_b32_e32 v20, 1, v20                              // 0000000022DC: 24282881
	v_mul_i32_i24_e32 v20, s11, v20                            // 0000000022E0: 0C28280B
	v_and_b32_e32 v21, 15, v0                                  // 0000000022E4: 262A008F
	v_lshlrev_b32_e32 v21, 3, v21                              // 0000000022E8: 242A2A83
	v_and_b32_e32 v22, 31, v0                                  // 0000000022EC: 262C009F
	v_lshrrev_b32_e32 v22, 4, v22                              // 0000000022F0: 202C2C84
	v_lshlrev_b32_e32 v22, 2, v22                              // 0000000022F4: 242C2C82
	v_add_u32_e32 v6, v20, v6                                  // 0000000022F8: 680C0D14
	v_add_u32_e32 v6, v21, v6                                  // 0000000022FC: 680C0D15
	v_add_u32_e32 v6, v22, v6                                  // 000000002300: 680C0D16
	s_mul_i32 s25, 16, s11                                     // 000000002304: 92190B90
	s_mul_i32 s25, s24, s25                                    // 000000002308: 92191918
	v_add_u32_e32 v6, s25, v6                                  // 00000000230C: 680C0C19
	v_and_b32_e32 v20, 15, v0                                  // 000000002310: 2628008F
	v_lshlrev_b32_e32 v20, 2, v20                              // 000000002314: 24282882
	s_sub_i32 s25, s34, 64                                     // 000000002318: 8199C022
	v_cmp_lt_u32_e64 s[30:31], v20, s25                        // 00000000231C: D0C9001E 00003314
	v_and_b32_e32 v20, 15, v0                                  // 000000002324: 2628008F
	v_lshrrev_b32_e32 v20, 1, v20                              // 000000002328: 20282881
	v_lshlrev_b32_e32 v20, 3, v20                              // 00000000232C: 24282883
	s_sub_i32 s25, s34, 64                                     // 000000002330: 8199C022
	v_cmp_lt_u32_e64 s[32:33], v20, s25                        // 000000002334: D0C90020 00003314
	v_mov_b32_e32 v24, 0xffff0000                              // 00000000233C: 7E3002FF FFFF0000
	v_mov_b32_e32 v25, 0x7fff0000                              // 000000002344: 7E3202FF 7FFF0000
	v_mov_b32_e32 v26, 0x7fff                                  // 00000000234C: 7E3402FF 00007FFF
	s_mul_i32 s25, s8, 0                                       // 000000002354: 92198008
	s_lshl_b32 s25, s25, 2                                     // 000000002358: 8E198219
	v_add_u32_e32 v5, s25, v4                                  // 00000000235C: 680A0819
	buffer_load_dwordx4 v[8:11], v5, s[12:15], 0 offen         // 000000002360: E05C1000 80030805
	v_add_u32_e32 v5, 0x100, v5                                // 000000002368: 680A0AFF 00000100
	s_waitcnt vmcnt(0) expcnt(0) lgkmcnt(0)                    // 000000002370: BF8C0000
	s_barrier                                                  // 000000002374: BF8A0000
	v_perm_b32 v16, v9, v8, s38                                // 000000002378: D1ED0010 009A1109
	v_perm_b32 v17, v11, v10, s38                              // 000000002380: D1ED0011 009A150B
	s_nop 1                                                    // 000000002388: BF800001
	s_mul_i32 s25, s24, 0x100                                  // 00000000238C: 9219FF18 00000100
	s_lshl_b32 s25, s25, 2                                     // 000000002394: 8E198219
	v_mov_b32_e32 v20, v0                                      // 000000002398: 7E280300
	v_lshlrev_b32_e32 v20, 2, v20                              // 00000000239C: 24282882
	v_add_u32_e64 v20, v20, s25                                // 0000000023A0: D1340014 00003314
	v_add_u32_e32 v21, 0x100, v20                              // 0000000023A8: 682A28FF 00000100
	ds_write_b32 v20, v16                                      // 0000000023B0: D81A0000 00001014
	ds_write_b32 v21, v17                                      // 0000000023B8: D81A0000 00001115
	s_barrier                                                  // 0000000023C0: BF8A0000
	v_lshrrev_b32_e32 v20, 4, v0                               // 0000000023C4: 20280084
	v_and_b32_e64 v21, v20, 1                                  // 0000000023C8: D1130015 00010314
	v_lshrrev_b32_e32 v22, 1, v20                              // 0000000023D0: 202C2881
	v_lshlrev_b32_e32 v20, 1, v21                              // 0000000023D4: 24282A81
	v_add_u32_e32 v20, v20, v22                                // 0000000023D8: 68282D14
	v_lshlrev_b32_e32 v20, 7, v20                              // 0000000023DC: 24282887
	v_and_b32_e64 v21, v0, 15                                  // 0000000023E0: D1130015 00011F00
	v_lshlrev_b32_e32 v21, 2, v21                              // 0000000023E8: 242A2A82
	v_add_u32_e32 v20, v21, v20                                // 0000000023EC: 68282915
	v_add_u32_e64 v20, v20, s25                                // 0000000023F0: D1340014 00003314
	v_add_u32_e32 v21, 64, v20                                 // 0000000023F8: 682A28C0
	ds_read_b32 v16, v20                                       // 0000000023FC: D86C0000 10000014
	ds_read_b32 v17, v21                                       // 000000002404: D86C0000 11000015
	s_barrier                                                  // 00000000240C: BF8A0000
	s_nop 1                                                    // 000000002410: BF800001
	s_mul_i32 s25, s11, 0                                      // 000000002414: 9219800B
	s_lshl_b32 s25, s25, 2                                     // 000000002418: 8E198219
	s_lshl_b32 s26, 0, 7                                       // 00000000241C: 8E1A8780
	v_add_u32_e32 v7, s25, v6                                  // 000000002420: 680E0C19
	v_add_u32_e32 v7, s26, v7                                  // 000000002424: 680E0E1A
	buffer_store_dword v16, v7, s[16:19], 0 offen              // 000000002428: E0701000 80041007
	v_add_u32_e32 v7, s11, v7                                  // 000000002430: 680E0E0B
	buffer_store_dword v17, v7, s[16:19], 0 offen              // 000000002434: E0701000 80041107
	v_mov_b32_e32 v12, 0                                       // 00000000243C: 7E180280
	v_mov_b32_e32 v13, 0                                       // 000000002440: 7E1A0280
	v_mov_b32_e32 v14, 0                                       // 000000002444: 7E1C0280
	v_mov_b32_e32 v15, 0                                       // 000000002448: 7E1E0280
	s_mov_b64 exec, s[30:31]                                   // 00000000244C: BEFE011E
	buffer_load_dwordx4 v[12:15], v5, s[12:15], 0 offen        // 000000002450: E05C1000 80030C05
	s_mov_b64 exec, -1                                         // 000000002458: BEFE01C1
	v_add_u32_e32 v5, 0x100, v5                                // 00000000245C: 680A0AFF 00000100
	s_waitcnt vmcnt(0) expcnt(0) lgkmcnt(0)                    // 000000002464: BF8C0000
	s_barrier                                                  // 000000002468: BF8A0000
	v_perm_b32 v18, v13, v12, s38                              // 00000000246C: D1ED0012 009A190D
	v_perm_b32 v19, v15, v14, s38                              // 000000002474: D1ED0013 009A1D0F
	s_nop 1                                                    // 00000000247C: BF800001
	s_mul_i32 s25, s24, 0x100                                  // 000000002480: 9219FF18 00000100
	s_lshl_b32 s25, s25, 2                                     // 000000002488: 8E198219
	v_mov_b32_e32 v20, v0                                      // 00000000248C: 7E280300
	v_lshlrev_b32_e32 v20, 2, v20                              // 000000002490: 24282882
	v_add_u32_e64 v20, v20, s25                                // 000000002494: D1340014 00003314
	v_add_u32_e32 v21, 0x100, v20                              // 00000000249C: 682A28FF 00000100
	ds_write_b32 v20, v18                                      // 0000000024A4: D81A0000 00001214
	ds_write_b32 v21, v19                                      // 0000000024AC: D81A0000 00001315
	s_barrier                                                  // 0000000024B4: BF8A0000
	v_lshrrev_b32_e32 v20, 4, v0                               // 0000000024B8: 20280084
	v_and_b32_e64 v21, v20, 1                                  // 0000000024BC: D1130015 00010314
	v_lshrrev_b32_e32 v22, 1, v20                              // 0000000024C4: 202C2881
	v_lshlrev_b32_e32 v20, 1, v21                              // 0000000024C8: 24282A81
	v_add_u32_e32 v20, v20, v22                                // 0000000024CC: 68282D14
	v_lshlrev_b32_e32 v20, 7, v20                              // 0000000024D0: 24282887
	v_and_b32_e64 v21, v0, 15                                  // 0000000024D4: D1130015 00011F00
	v_lshlrev_b32_e32 v21, 2, v21                              // 0000000024DC: 242A2A82
	v_add_u32_e32 v20, v21, v20                                // 0000000024E0: 68282915
	v_add_u32_e64 v20, v20, s25                                // 0000000024E4: D1340014 00003314
	v_add_u32_e32 v21, 64, v20                                 // 0000000024EC: 682A28C0
	ds_read_b32 v18, v20                                       // 0000000024F0: D86C0000 12000014
	ds_read_b32 v19, v21                                       // 0000000024F8: D86C0000 13000015
	s_barrier                                                  // 000000002500: BF8A0000
	s_nop 1                                                    // 000000002504: BF800001
	s_mul_i32 s25, s11, 0                                      // 000000002508: 9219800B
	s_lshl_b32 s25, s25, 2                                     // 00000000250C: 8E198219
	s_lshl_b32 s26, 1, 7                                       // 000000002510: 8E1A8781
	v_add_u32_e32 v7, s25, v6                                  // 000000002514: 680E0C19
	v_add_u32_e32 v7, s26, v7                                  // 000000002518: 680E0E1A
	s_mov_b64 exec, s[32:33]                                   // 00000000251C: BEFE0120
	buffer_store_dword v18, v7, s[16:19], 0 offen              // 000000002520: E0701000 80041207
	v_add_u32_e32 v7, s11, v7                                  // 000000002528: 680E0E0B
	buffer_store_dword v19, v7, s[16:19], 0 offen              // 00000000252C: E0701000 80041307
	s_mov_b64 exec, -1                                         // 000000002534: BEFE01C1
	s_mul_i32 s25, s8, 1                                       // 000000002538: 92198108
	s_lshl_b32 s25, s25, 2                                     // 00000000253C: 8E198219
	v_add_u32_e32 v5, s25, v4                                  // 000000002540: 680A0819
	buffer_load_dwordx4 v[8:11], v5, s[12:15], 0 offen         // 000000002544: E05C1000 80030805
	v_add_u32_e32 v5, 0x100, v5                                // 00000000254C: 680A0AFF 00000100
	s_waitcnt vmcnt(0) expcnt(0) lgkmcnt(0)                    // 000000002554: BF8C0000
	s_barrier                                                  // 000000002558: BF8A0000
	v_perm_b32 v16, v9, v8, s38                                // 00000000255C: D1ED0010 009A1109
	v_perm_b32 v17, v11, v10, s38                              // 000000002564: D1ED0011 009A150B
	s_nop 1                                                    // 00000000256C: BF800001
	s_mul_i32 s25, s24, 0x100                                  // 000000002570: 9219FF18 00000100
	s_lshl_b32 s25, s25, 2                                     // 000000002578: 8E198219
	v_mov_b32_e32 v20, v0                                      // 00000000257C: 7E280300
	v_lshlrev_b32_e32 v20, 2, v20                              // 000000002580: 24282882
	v_add_u32_e64 v20, v20, s25                                // 000000002584: D1340014 00003314
	v_add_u32_e32 v21, 0x100, v20                              // 00000000258C: 682A28FF 00000100
	ds_write_b32 v20, v16                                      // 000000002594: D81A0000 00001014
	ds_write_b32 v21, v17                                      // 00000000259C: D81A0000 00001115
	s_barrier                                                  // 0000000025A4: BF8A0000
	v_lshrrev_b32_e32 v20, 4, v0                               // 0000000025A8: 20280084
	v_and_b32_e64 v21, v20, 1                                  // 0000000025AC: D1130015 00010314
	v_lshrrev_b32_e32 v22, 1, v20                              // 0000000025B4: 202C2881
	v_lshlrev_b32_e32 v20, 1, v21                              // 0000000025B8: 24282A81
	v_add_u32_e32 v20, v20, v22                                // 0000000025BC: 68282D14
	v_lshlrev_b32_e32 v20, 7, v20                              // 0000000025C0: 24282887
	v_and_b32_e64 v21, v0, 15                                  // 0000000025C4: D1130015 00011F00
	v_lshlrev_b32_e32 v21, 2, v21                              // 0000000025CC: 242A2A82
	v_add_u32_e32 v20, v21, v20                                // 0000000025D0: 68282915
	v_add_u32_e64 v20, v20, s25                                // 0000000025D4: D1340014 00003314
	v_add_u32_e32 v21, 64, v20                                 // 0000000025DC: 682A28C0
	ds_read_b32 v16, v20                                       // 0000000025E0: D86C0000 10000014
	ds_read_b32 v17, v21                                       // 0000000025E8: D86C0000 11000015
	s_barrier                                                  // 0000000025F0: BF8A0000
	s_nop 1                                                    // 0000000025F4: BF800001
	s_mul_i32 s25, s11, 1                                      // 0000000025F8: 9219810B
	s_lshl_b32 s25, s25, 2                                     // 0000000025FC: 8E198219
	s_lshl_b32 s26, 0, 7                                       // 000000002600: 8E1A8780
	v_add_u32_e32 v7, s25, v6                                  // 000000002604: 680E0C19
	v_add_u32_e32 v7, s26, v7                                  // 000000002608: 680E0E1A
	buffer_store_dword v16, v7, s[16:19], 0 offen              // 00000000260C: E0701000 80041007
	v_add_u32_e32 v7, s11, v7                                  // 000000002614: 680E0E0B
	buffer_store_dword v17, v7, s[16:19], 0 offen              // 000000002618: E0701000 80041107
	v_mov_b32_e32 v12, 0                                       // 000000002620: 7E180280
	v_mov_b32_e32 v13, 0                                       // 000000002624: 7E1A0280
	v_mov_b32_e32 v14, 0                                       // 000000002628: 7E1C0280
	v_mov_b32_e32 v15, 0                                       // 00000000262C: 7E1E0280
	s_mov_b64 exec, s[30:31]                                   // 000000002630: BEFE011E
	buffer_load_dwordx4 v[12:15], v5, s[12:15], 0 offen        // 000000002634: E05C1000 80030C05
	s_mov_b64 exec, -1                                         // 00000000263C: BEFE01C1
	v_add_u32_e32 v5, 0x100, v5                                // 000000002640: 680A0AFF 00000100
	s_waitcnt vmcnt(0) expcnt(0) lgkmcnt(0)                    // 000000002648: BF8C0000
	s_barrier                                                  // 00000000264C: BF8A0000
	v_perm_b32 v18, v13, v12, s38                              // 000000002650: D1ED0012 009A190D
	v_perm_b32 v19, v15, v14, s38                              // 000000002658: D1ED0013 009A1D0F
	s_nop 1                                                    // 000000002660: BF800001
	s_mul_i32 s25, s24, 0x100                                  // 000000002664: 9219FF18 00000100
	s_lshl_b32 s25, s25, 2                                     // 00000000266C: 8E198219
	v_mov_b32_e32 v20, v0                                      // 000000002670: 7E280300
	v_lshlrev_b32_e32 v20, 2, v20                              // 000000002674: 24282882
	v_add_u32_e64 v20, v20, s25                                // 000000002678: D1340014 00003314
	v_add_u32_e32 v21, 0x100, v20                              // 000000002680: 682A28FF 00000100
	ds_write_b32 v20, v18                                      // 000000002688: D81A0000 00001214
	ds_write_b32 v21, v19                                      // 000000002690: D81A0000 00001315
	s_barrier                                                  // 000000002698: BF8A0000
	v_lshrrev_b32_e32 v20, 4, v0                               // 00000000269C: 20280084
	v_and_b32_e64 v21, v20, 1                                  // 0000000026A0: D1130015 00010314
	v_lshrrev_b32_e32 v22, 1, v20                              // 0000000026A8: 202C2881
	v_lshlrev_b32_e32 v20, 1, v21                              // 0000000026AC: 24282A81
	v_add_u32_e32 v20, v20, v22                                // 0000000026B0: 68282D14
	v_lshlrev_b32_e32 v20, 7, v20                              // 0000000026B4: 24282887
	v_and_b32_e64 v21, v0, 15                                  // 0000000026B8: D1130015 00011F00
	v_lshlrev_b32_e32 v21, 2, v21                              // 0000000026C0: 242A2A82
	v_add_u32_e32 v20, v21, v20                                // 0000000026C4: 68282915
	v_add_u32_e64 v20, v20, s25                                // 0000000026C8: D1340014 00003314
	v_add_u32_e32 v21, 64, v20                                 // 0000000026D0: 682A28C0
	ds_read_b32 v18, v20                                       // 0000000026D4: D86C0000 12000014
	ds_read_b32 v19, v21                                       // 0000000026DC: D86C0000 13000015
	s_barrier                                                  // 0000000026E4: BF8A0000
	s_nop 1                                                    // 0000000026E8: BF800001
	s_mul_i32 s25, s11, 1                                      // 0000000026EC: 9219810B
	s_lshl_b32 s25, s25, 2                                     // 0000000026F0: 8E198219
	s_lshl_b32 s26, 1, 7                                       // 0000000026F4: 8E1A8781
	v_add_u32_e32 v7, s25, v6                                  // 0000000026F8: 680E0C19
	v_add_u32_e32 v7, s26, v7                                  // 0000000026FC: 680E0E1A
	s_mov_b64 exec, s[32:33]                                   // 000000002700: BEFE0120
	buffer_store_dword v18, v7, s[16:19], 0 offen              // 000000002704: E0701000 80041207
	v_add_u32_e32 v7, s11, v7                                  // 00000000270C: 680E0E0B
	buffer_store_dword v19, v7, s[16:19], 0 offen              // 000000002710: E0701000 80041307
	s_mov_b64 exec, -1                                         // 000000002718: BEFE01C1
	s_mul_i32 s25, s8, 2                                       // 00000000271C: 92198208
	s_lshl_b32 s25, s25, 2                                     // 000000002720: 8E198219
	v_add_u32_e32 v5, s25, v4                                  // 000000002724: 680A0819
	buffer_load_dwordx4 v[8:11], v5, s[12:15], 0 offen         // 000000002728: E05C1000 80030805
	v_add_u32_e32 v5, 0x100, v5                                // 000000002730: 680A0AFF 00000100
	s_waitcnt vmcnt(0) expcnt(0) lgkmcnt(0)                    // 000000002738: BF8C0000
	s_barrier                                                  // 00000000273C: BF8A0000
	v_perm_b32 v16, v9, v8, s38                                // 000000002740: D1ED0010 009A1109
	v_perm_b32 v17, v11, v10, s38                              // 000000002748: D1ED0011 009A150B
	s_nop 1                                                    // 000000002750: BF800001
	s_mul_i32 s25, s24, 0x100                                  // 000000002754: 9219FF18 00000100
	s_lshl_b32 s25, s25, 2                                     // 00000000275C: 8E198219
	v_mov_b32_e32 v20, v0                                      // 000000002760: 7E280300
	v_lshlrev_b32_e32 v20, 2, v20                              // 000000002764: 24282882
	v_add_u32_e64 v20, v20, s25                                // 000000002768: D1340014 00003314
	v_add_u32_e32 v21, 0x100, v20                              // 000000002770: 682A28FF 00000100
	ds_write_b32 v20, v16                                      // 000000002778: D81A0000 00001014
	ds_write_b32 v21, v17                                      // 000000002780: D81A0000 00001115
	s_barrier                                                  // 000000002788: BF8A0000
	v_lshrrev_b32_e32 v20, 4, v0                               // 00000000278C: 20280084
	v_and_b32_e64 v21, v20, 1                                  // 000000002790: D1130015 00010314
	v_lshrrev_b32_e32 v22, 1, v20                              // 000000002798: 202C2881
	v_lshlrev_b32_e32 v20, 1, v21                              // 00000000279C: 24282A81
	v_add_u32_e32 v20, v20, v22                                // 0000000027A0: 68282D14
	v_lshlrev_b32_e32 v20, 7, v20                              // 0000000027A4: 24282887
	v_and_b32_e64 v21, v0, 15                                  // 0000000027A8: D1130015 00011F00
	v_lshlrev_b32_e32 v21, 2, v21                              // 0000000027B0: 242A2A82
	v_add_u32_e32 v20, v21, v20                                // 0000000027B4: 68282915
	v_add_u32_e64 v20, v20, s25                                // 0000000027B8: D1340014 00003314
	v_add_u32_e32 v21, 64, v20                                 // 0000000027C0: 682A28C0
	ds_read_b32 v16, v20                                       // 0000000027C4: D86C0000 10000014
	ds_read_b32 v17, v21                                       // 0000000027CC: D86C0000 11000015
	s_barrier                                                  // 0000000027D4: BF8A0000
	s_nop 1                                                    // 0000000027D8: BF800001
	s_mul_i32 s25, s11, 2                                      // 0000000027DC: 9219820B
	s_lshl_b32 s25, s25, 2                                     // 0000000027E0: 8E198219
	s_lshl_b32 s26, 0, 7                                       // 0000000027E4: 8E1A8780
	v_add_u32_e32 v7, s25, v6                                  // 0000000027E8: 680E0C19
	v_add_u32_e32 v7, s26, v7                                  // 0000000027EC: 680E0E1A
	buffer_store_dword v16, v7, s[16:19], 0 offen              // 0000000027F0: E0701000 80041007
	v_add_u32_e32 v7, s11, v7                                  // 0000000027F8: 680E0E0B
	buffer_store_dword v17, v7, s[16:19], 0 offen              // 0000000027FC: E0701000 80041107
	v_mov_b32_e32 v12, 0                                       // 000000002804: 7E180280
	v_mov_b32_e32 v13, 0                                       // 000000002808: 7E1A0280
	v_mov_b32_e32 v14, 0                                       // 00000000280C: 7E1C0280
	v_mov_b32_e32 v15, 0                                       // 000000002810: 7E1E0280
	s_mov_b64 exec, s[30:31]                                   // 000000002814: BEFE011E
	buffer_load_dwordx4 v[12:15], v5, s[12:15], 0 offen        // 000000002818: E05C1000 80030C05
	s_mov_b64 exec, -1                                         // 000000002820: BEFE01C1
	v_add_u32_e32 v5, 0x100, v5                                // 000000002824: 680A0AFF 00000100
	s_waitcnt vmcnt(0) expcnt(0) lgkmcnt(0)                    // 00000000282C: BF8C0000
	s_barrier                                                  // 000000002830: BF8A0000
	v_perm_b32 v18, v13, v12, s38                              // 000000002834: D1ED0012 009A190D
	v_perm_b32 v19, v15, v14, s38                              // 00000000283C: D1ED0013 009A1D0F
	s_nop 1                                                    // 000000002844: BF800001
	s_mul_i32 s25, s24, 0x100                                  // 000000002848: 9219FF18 00000100
	s_lshl_b32 s25, s25, 2                                     // 000000002850: 8E198219
	v_mov_b32_e32 v20, v0                                      // 000000002854: 7E280300
	v_lshlrev_b32_e32 v20, 2, v20                              // 000000002858: 24282882
	v_add_u32_e64 v20, v20, s25                                // 00000000285C: D1340014 00003314
	v_add_u32_e32 v21, 0x100, v20                              // 000000002864: 682A28FF 00000100
	ds_write_b32 v20, v18                                      // 00000000286C: D81A0000 00001214
	ds_write_b32 v21, v19                                      // 000000002874: D81A0000 00001315
	s_barrier                                                  // 00000000287C: BF8A0000
	v_lshrrev_b32_e32 v20, 4, v0                               // 000000002880: 20280084
	v_and_b32_e64 v21, v20, 1                                  // 000000002884: D1130015 00010314
	v_lshrrev_b32_e32 v22, 1, v20                              // 00000000288C: 202C2881
	v_lshlrev_b32_e32 v20, 1, v21                              // 000000002890: 24282A81
	v_add_u32_e32 v20, v20, v22                                // 000000002894: 68282D14
	v_lshlrev_b32_e32 v20, 7, v20                              // 000000002898: 24282887
	v_and_b32_e64 v21, v0, 15                                  // 00000000289C: D1130015 00011F00
	v_lshlrev_b32_e32 v21, 2, v21                              // 0000000028A4: 242A2A82
	v_add_u32_e32 v20, v21, v20                                // 0000000028A8: 68282915
	v_add_u32_e64 v20, v20, s25                                // 0000000028AC: D1340014 00003314
	v_add_u32_e32 v21, 64, v20                                 // 0000000028B4: 682A28C0
	ds_read_b32 v18, v20                                       // 0000000028B8: D86C0000 12000014
	ds_read_b32 v19, v21                                       // 0000000028C0: D86C0000 13000015
	s_barrier                                                  // 0000000028C8: BF8A0000
	s_nop 1                                                    // 0000000028CC: BF800001
	s_mul_i32 s25, s11, 2                                      // 0000000028D0: 9219820B
	s_lshl_b32 s25, s25, 2                                     // 0000000028D4: 8E198219
	s_lshl_b32 s26, 1, 7                                       // 0000000028D8: 8E1A8781
	v_add_u32_e32 v7, s25, v6                                  // 0000000028DC: 680E0C19
	v_add_u32_e32 v7, s26, v7                                  // 0000000028E0: 680E0E1A
	s_mov_b64 exec, s[32:33]                                   // 0000000028E4: BEFE0120
	buffer_store_dword v18, v7, s[16:19], 0 offen              // 0000000028E8: E0701000 80041207
	v_add_u32_e32 v7, s11, v7                                  // 0000000028F0: 680E0E0B
	buffer_store_dword v19, v7, s[16:19], 0 offen              // 0000000028F4: E0701000 80041307
	s_mov_b64 exec, -1                                         // 0000000028FC: BEFE01C1
	s_mul_i32 s25, s8, 3                                       // 000000002900: 92198308
	s_lshl_b32 s25, s25, 2                                     // 000000002904: 8E198219
	v_add_u32_e32 v5, s25, v4                                  // 000000002908: 680A0819
	buffer_load_dwordx4 v[8:11], v5, s[12:15], 0 offen         // 00000000290C: E05C1000 80030805
	v_add_u32_e32 v5, 0x100, v5                                // 000000002914: 680A0AFF 00000100
	s_waitcnt vmcnt(0) expcnt(0) lgkmcnt(0)                    // 00000000291C: BF8C0000
	s_barrier                                                  // 000000002920: BF8A0000
	v_perm_b32 v16, v9, v8, s38                                // 000000002924: D1ED0010 009A1109
	v_perm_b32 v17, v11, v10, s38                              // 00000000292C: D1ED0011 009A150B
	s_nop 1                                                    // 000000002934: BF800001
	s_mul_i32 s25, s24, 0x100                                  // 000000002938: 9219FF18 00000100
	s_lshl_b32 s25, s25, 2                                     // 000000002940: 8E198219
	v_mov_b32_e32 v20, v0                                      // 000000002944: 7E280300
	v_lshlrev_b32_e32 v20, 2, v20                              // 000000002948: 24282882
	v_add_u32_e64 v20, v20, s25                                // 00000000294C: D1340014 00003314
	v_add_u32_e32 v21, 0x100, v20                              // 000000002954: 682A28FF 00000100
	ds_write_b32 v20, v16                                      // 00000000295C: D81A0000 00001014
	ds_write_b32 v21, v17                                      // 000000002964: D81A0000 00001115
	s_barrier                                                  // 00000000296C: BF8A0000
	v_lshrrev_b32_e32 v20, 4, v0                               // 000000002970: 20280084
	v_and_b32_e64 v21, v20, 1                                  // 000000002974: D1130015 00010314
	v_lshrrev_b32_e32 v22, 1, v20                              // 00000000297C: 202C2881
	v_lshlrev_b32_e32 v20, 1, v21                              // 000000002980: 24282A81
	v_add_u32_e32 v20, v20, v22                                // 000000002984: 68282D14
	v_lshlrev_b32_e32 v20, 7, v20                              // 000000002988: 24282887
	v_and_b32_e64 v21, v0, 15                                  // 00000000298C: D1130015 00011F00
	v_lshlrev_b32_e32 v21, 2, v21                              // 000000002994: 242A2A82
	v_add_u32_e32 v20, v21, v20                                // 000000002998: 68282915
	v_add_u32_e64 v20, v20, s25                                // 00000000299C: D1340014 00003314
	v_add_u32_e32 v21, 64, v20                                 // 0000000029A4: 682A28C0
	ds_read_b32 v16, v20                                       // 0000000029A8: D86C0000 10000014
	ds_read_b32 v17, v21                                       // 0000000029B0: D86C0000 11000015
	s_barrier                                                  // 0000000029B8: BF8A0000
	s_nop 1                                                    // 0000000029BC: BF800001
	s_mul_i32 s25, s11, 3                                      // 0000000029C0: 9219830B
	s_lshl_b32 s25, s25, 2                                     // 0000000029C4: 8E198219
	s_lshl_b32 s26, 0, 7                                       // 0000000029C8: 8E1A8780
	v_add_u32_e32 v7, s25, v6                                  // 0000000029CC: 680E0C19
	v_add_u32_e32 v7, s26, v7                                  // 0000000029D0: 680E0E1A
	buffer_store_dword v16, v7, s[16:19], 0 offen              // 0000000029D4: E0701000 80041007
	v_add_u32_e32 v7, s11, v7                                  // 0000000029DC: 680E0E0B
	buffer_store_dword v17, v7, s[16:19], 0 offen              // 0000000029E0: E0701000 80041107
	v_mov_b32_e32 v12, 0                                       // 0000000029E8: 7E180280
	v_mov_b32_e32 v13, 0                                       // 0000000029EC: 7E1A0280
	v_mov_b32_e32 v14, 0                                       // 0000000029F0: 7E1C0280
	v_mov_b32_e32 v15, 0                                       // 0000000029F4: 7E1E0280
	s_mov_b64 exec, s[30:31]                                   // 0000000029F8: BEFE011E
	buffer_load_dwordx4 v[12:15], v5, s[12:15], 0 offen        // 0000000029FC: E05C1000 80030C05
	s_mov_b64 exec, -1                                         // 000000002A04: BEFE01C1
	v_add_u32_e32 v5, 0x100, v5                                // 000000002A08: 680A0AFF 00000100
	s_waitcnt vmcnt(0) expcnt(0) lgkmcnt(0)                    // 000000002A10: BF8C0000
	s_barrier                                                  // 000000002A14: BF8A0000
	v_perm_b32 v18, v13, v12, s38                              // 000000002A18: D1ED0012 009A190D
	v_perm_b32 v19, v15, v14, s38                              // 000000002A20: D1ED0013 009A1D0F
	s_nop 1                                                    // 000000002A28: BF800001
	s_mul_i32 s25, s24, 0x100                                  // 000000002A2C: 9219FF18 00000100
	s_lshl_b32 s25, s25, 2                                     // 000000002A34: 8E198219
	v_mov_b32_e32 v20, v0                                      // 000000002A38: 7E280300
	v_lshlrev_b32_e32 v20, 2, v20                              // 000000002A3C: 24282882
	v_add_u32_e64 v20, v20, s25                                // 000000002A40: D1340014 00003314
	v_add_u32_e32 v21, 0x100, v20                              // 000000002A48: 682A28FF 00000100
	ds_write_b32 v20, v18                                      // 000000002A50: D81A0000 00001214
	ds_write_b32 v21, v19                                      // 000000002A58: D81A0000 00001315
	s_barrier                                                  // 000000002A60: BF8A0000
	v_lshrrev_b32_e32 v20, 4, v0                               // 000000002A64: 20280084
	v_and_b32_e64 v21, v20, 1                                  // 000000002A68: D1130015 00010314
	v_lshrrev_b32_e32 v22, 1, v20                              // 000000002A70: 202C2881
	v_lshlrev_b32_e32 v20, 1, v21                              // 000000002A74: 24282A81
	v_add_u32_e32 v20, v20, v22                                // 000000002A78: 68282D14
	v_lshlrev_b32_e32 v20, 7, v20                              // 000000002A7C: 24282887
	v_and_b32_e64 v21, v0, 15                                  // 000000002A80: D1130015 00011F00
	v_lshlrev_b32_e32 v21, 2, v21                              // 000000002A88: 242A2A82
	v_add_u32_e32 v20, v21, v20                                // 000000002A8C: 68282915
	v_add_u32_e64 v20, v20, s25                                // 000000002A90: D1340014 00003314
	v_add_u32_e32 v21, 64, v20                                 // 000000002A98: 682A28C0
	ds_read_b32 v18, v20                                       // 000000002A9C: D86C0000 12000014
	ds_read_b32 v19, v21                                       // 000000002AA4: D86C0000 13000015
	s_barrier                                                  // 000000002AAC: BF8A0000
	s_nop 1                                                    // 000000002AB0: BF800001
	s_mul_i32 s25, s11, 3                                      // 000000002AB4: 9219830B
	s_lshl_b32 s25, s25, 2                                     // 000000002AB8: 8E198219
	s_lshl_b32 s26, 1, 7                                       // 000000002ABC: 8E1A8781
	v_add_u32_e32 v7, s25, v6                                  // 000000002AC0: 680E0C19
	v_add_u32_e32 v7, s26, v7                                  // 000000002AC4: 680E0E1A
	s_mov_b64 exec, s[32:33]                                   // 000000002AC8: BEFE0120
	buffer_store_dword v18, v7, s[16:19], 0 offen              // 000000002ACC: E0701000 80041207
	v_add_u32_e32 v7, s11, v7                                  // 000000002AD4: 680E0E0B
	buffer_store_dword v19, v7, s[16:19], 0 offen              // 000000002AD8: E0701000 80041307
	s_mov_b64 exec, -1                                         // 000000002AE0: BEFE01C1

0000000000002ae4 <label_0279>:
	s_waitcnt vmcnt(0) expcnt(0) lgkmcnt(0)                    // 000000002AE4: BF8C0000
	s_endpgm                                                   // 000000002AE8: BF810000
